;; amdgpu-corpus repo=zjin-lcf/HeCBench kind=compiled arch=gfx1030 opt=O3
	.amdgcn_target "amdgcn-amd-amdhsa--gfx1030"
	.amdhsa_code_object_version 6
	.section	.text._Z20warp_multiply_kernelIfEviiiPKiS1_PKT_S4_PS2_,"axG",@progbits,_Z20warp_multiply_kernelIfEviiiPKiS1_PKT_S4_PS2_,comdat
	.protected	_Z20warp_multiply_kernelIfEviiiPKiS1_PKT_S4_PS2_ ; -- Begin function _Z20warp_multiply_kernelIfEviiiPKiS1_PKT_S4_PS2_
	.globl	_Z20warp_multiply_kernelIfEviiiPKiS1_PKT_S4_PS2_
	.p2align	8
	.type	_Z20warp_multiply_kernelIfEviiiPKiS1_PKT_S4_PS2_,@function
_Z20warp_multiply_kernelIfEviiiPKiS1_PKT_S4_PS2_: ; @_Z20warp_multiply_kernelIfEviiiPKiS1_PKT_S4_PS2_
; %bb.0:
	s_mov_b64 s[0:1], src_shared_base
	s_clause 0x1
	s_load_dwordx4 s[16:19], s[4:5], 0x0
	s_load_dword s0, s[4:5], 0x44
	s_waitcnt lgkmcnt(0)
	s_abs_i32 s2, s16
	s_and_b32 s0, s0, 0xffff
	v_cvt_f32_u32_e32 v1, s2
	s_sub_i32 s3, 0, s2
	v_rcp_iflag_f32_e32 v1, v1
	v_mul_f32_e32 v1, 0x4f7ffffe, v1
	v_cvt_u32_f32_e32 v1, v1
	v_mul_lo_u32 v2, s3, v1
	v_mad_u64_u32 v[6:7], null, s6, s0, v[0:1]
	v_lshlrev_b32_e32 v0, 2, v0
	s_mov_b32 s0, exec_lo
	v_mul_hi_u32 v2, v1, v2
	v_sub_nc_u32_e32 v3, 0, v6
	v_max_i32_e32 v3, v6, v3
	v_add_nc_u32_e32 v1, v1, v2
	v_mul_hi_u32 v1, v3, v1
	v_mul_lo_u32 v2, v1, s2
	v_sub_nc_u32_e32 v2, v3, v2
	v_add_nc_u32_e32 v3, 1, v1
	v_subrev_nc_u32_e32 v4, s2, v2
	v_cmp_le_u32_e32 vcc_lo, s2, v2
	v_cndmask_b32_e32 v1, v1, v3, vcc_lo
	v_cndmask_b32_e32 v2, v2, v4, vcc_lo
	v_xor_b32_e32 v3, s16, v6
	v_add_nc_u32_e32 v4, 1, v1
	v_cmp_le_u32_e32 vcc_lo, s2, v2
	v_ashrrev_i32_e32 v8, 31, v3
	v_mov_b32_e32 v3, 0
	v_cndmask_b32_e32 v1, v1, v4, vcc_lo
	v_xor_b32_e32 v10, v1, v8
	v_mov_b32_e32 v1, s1
	v_sub_nc_u32_e32 v7, v10, v8
	flat_store_dword v[0:1], v3
	s_waitcnt_vscnt null, 0x0
	v_add_nc_u32_e32 v2, s18, v7
	v_cmpx_gt_i32_e64 s17, v2
	s_cbranch_execz .LBB0_7
; %bb.1:
	s_load_dwordx8 s[8:15], s[4:5], 0x10
	v_ashrrev_i32_e32 v3, 31, v2
	s_load_dwordx2 s[2:3], s[4:5], 0x30
	v_mul_lo_u32 v7, v7, s16
	s_mov_b32 s1, exec_lo
	v_lshlrev_b64 v[2:3], 2, v[2:3]
	v_sub_nc_u32_e32 v9, v6, v7
	s_waitcnt lgkmcnt(0)
	v_add_co_u32 v4, vcc_lo, s8, v2
	v_add_co_ci_u32_e64 v5, null, s9, v3, vcc_lo
	global_load_dwordx2 v[4:5], v[4:5], off
	s_waitcnt vmcnt(0)
	v_add_nc_u32_e32 v7, v4, v9
	v_cmpx_lt_i32_e64 v7, v5
	s_cbranch_execz .LBB0_4
; %bb.2:
	v_sub_nc_u32_e32 v8, v8, v10
	s_ashr_i32 s17, s16, 31
	s_mov_b32 s6, 0
	s_lshl_b64 s[4:5], s[16:17], 2
	v_mul_lo_u32 v10, s16, v8
	v_ashrrev_i32_e32 v8, 31, v7
	v_lshlrev_b64 v[7:8], 2, v[7:8]
	v_add3_u32 v4, v6, v4, v10
	s_inst_prefetch 0x1
	.p2align	6
.LBB0_3:                                ; =>This Inner Loop Header: Depth=1
	v_add_co_u32 v10, vcc_lo, s10, v7
	v_add_co_ci_u32_e64 v11, null, s11, v8, vcc_lo
	v_add_co_u32 v12, vcc_lo, s12, v7
	v_add_co_ci_u32_e64 v13, null, s13, v8, vcc_lo
	global_load_dword v10, v[10:11], off
	v_add_nc_u32_e32 v4, s16, v4
	v_cmp_ge_i32_e64 s0, v4, v5
	s_or_b32 s6, s0, s6
	s_waitcnt vmcnt(0)
	v_ashrrev_i32_e32 v11, 31, v10
	v_lshlrev_b64 v[10:11], 2, v[10:11]
	v_add_co_u32 v10, vcc_lo, s14, v10
	v_add_co_ci_u32_e64 v11, null, s15, v11, vcc_lo
	v_add_co_u32 v7, vcc_lo, v7, s4
	global_load_dword v6, v[12:13], off
	global_load_dword v10, v[10:11], off
	flat_load_dword v11, v[0:1] glc dlc
	s_waitcnt vmcnt(0)
	v_add_co_ci_u32_e64 v8, null, s5, v8, vcc_lo
	s_waitcnt lgkmcnt(0)
	v_fmac_f32_e32 v11, v6, v10
	flat_store_dword v[0:1], v11
	s_waitcnt_vscnt null, 0x0
	s_andn2_b32 exec_lo, exec_lo, s6
	s_cbranch_execnz .LBB0_3
.LBB0_4:
	s_inst_prefetch 0x2
	s_or_b32 exec_lo, exec_lo, s1
	s_cmp_lt_i32 s16, 2
	s_cbranch_scc0 .LBB0_9
.LBB0_5:
	v_cmp_eq_u32_e32 vcc_lo, 0, v9
	s_and_b32 exec_lo, exec_lo, vcc_lo
	s_cbranch_execz .LBB0_7
; %bb.6:
	flat_load_dword v4, v[0:1] glc dlc
	s_waitcnt vmcnt(0)
	v_add_co_u32 v0, vcc_lo, s2, v2
	v_add_co_ci_u32_e64 v1, null, s3, v3, vcc_lo
	s_waitcnt lgkmcnt(0)
	global_store_dword v[0:1], v4, off
.LBB0_7:
	s_endpgm
	.p2align	6
.LBB0_8:                                ;   in Loop: Header=BB0_9 Depth=1
	s_or_b32 exec_lo, exec_lo, s1
	s_cmp_gt_u32 s16, 3
	s_mov_b32 s16, s0
	s_cbranch_scc0 .LBB0_5
.LBB0_9:                                ; =>This Inner Loop Header: Depth=1
	s_lshr_b32 s0, s16, 1
	s_mov_b32 s1, exec_lo
	v_cmpx_gt_i32_e64 s0, v9
	s_cbranch_execz .LBB0_8
; %bb.10:                               ;   in Loop: Header=BB0_9 Depth=1
	s_mov_b64 s[4:5], src_shared_base
	v_lshl_add_u32 v4, s0, 2, v0
	v_mov_b32_e32 v5, s5
	flat_load_dword v4, v[4:5] glc dlc
	s_waitcnt vmcnt(0)
	flat_load_dword v5, v[0:1] glc dlc
	s_waitcnt vmcnt(0) lgkmcnt(0)
	v_add_f32_e32 v4, v4, v5
	flat_store_dword v[0:1], v4
	s_waitcnt_vscnt null, 0x0
	s_branch .LBB0_8
	.section	.rodata,"a",@progbits
	.p2align	6, 0x0
	.amdhsa_kernel _Z20warp_multiply_kernelIfEviiiPKiS1_PKT_S4_PS2_
		.amdhsa_group_segment_fixed_size 1024
		.amdhsa_private_segment_fixed_size 0
		.amdhsa_kernarg_size 312
		.amdhsa_user_sgpr_count 6
		.amdhsa_user_sgpr_private_segment_buffer 1
		.amdhsa_user_sgpr_dispatch_ptr 0
		.amdhsa_user_sgpr_queue_ptr 0
		.amdhsa_user_sgpr_kernarg_segment_ptr 1
		.amdhsa_user_sgpr_dispatch_id 0
		.amdhsa_user_sgpr_flat_scratch_init 0
		.amdhsa_user_sgpr_private_segment_size 0
		.amdhsa_wavefront_size32 1
		.amdhsa_uses_dynamic_stack 0
		.amdhsa_system_sgpr_private_segment_wavefront_offset 0
		.amdhsa_system_sgpr_workgroup_id_x 1
		.amdhsa_system_sgpr_workgroup_id_y 0
		.amdhsa_system_sgpr_workgroup_id_z 0
		.amdhsa_system_sgpr_workgroup_info 0
		.amdhsa_system_vgpr_workitem_id 0
		.amdhsa_next_free_vgpr 14
		.amdhsa_next_free_sgpr 20
		.amdhsa_reserve_vcc 1
		.amdhsa_reserve_flat_scratch 0
		.amdhsa_float_round_mode_32 0
		.amdhsa_float_round_mode_16_64 0
		.amdhsa_float_denorm_mode_32 3
		.amdhsa_float_denorm_mode_16_64 3
		.amdhsa_dx10_clamp 1
		.amdhsa_ieee_mode 1
		.amdhsa_fp16_overflow 0
		.amdhsa_workgroup_processor_mode 1
		.amdhsa_memory_ordered 1
		.amdhsa_forward_progress 1
		.amdhsa_shared_vgpr_count 0
		.amdhsa_exception_fp_ieee_invalid_op 0
		.amdhsa_exception_fp_denorm_src 0
		.amdhsa_exception_fp_ieee_div_zero 0
		.amdhsa_exception_fp_ieee_overflow 0
		.amdhsa_exception_fp_ieee_underflow 0
		.amdhsa_exception_fp_ieee_inexact 0
		.amdhsa_exception_int_div_zero 0
	.end_amdhsa_kernel
	.section	.text._Z20warp_multiply_kernelIfEviiiPKiS1_PKT_S4_PS2_,"axG",@progbits,_Z20warp_multiply_kernelIfEviiiPKiS1_PKT_S4_PS2_,comdat
.Lfunc_end0:
	.size	_Z20warp_multiply_kernelIfEviiiPKiS1_PKT_S4_PS2_, .Lfunc_end0-_Z20warp_multiply_kernelIfEviiiPKiS1_PKT_S4_PS2_
                                        ; -- End function
	.set _Z20warp_multiply_kernelIfEviiiPKiS1_PKT_S4_PS2_.num_vgpr, 14
	.set _Z20warp_multiply_kernelIfEviiiPKiS1_PKT_S4_PS2_.num_agpr, 0
	.set _Z20warp_multiply_kernelIfEviiiPKiS1_PKT_S4_PS2_.numbered_sgpr, 20
	.set _Z20warp_multiply_kernelIfEviiiPKiS1_PKT_S4_PS2_.num_named_barrier, 0
	.set _Z20warp_multiply_kernelIfEviiiPKiS1_PKT_S4_PS2_.private_seg_size, 0
	.set _Z20warp_multiply_kernelIfEviiiPKiS1_PKT_S4_PS2_.uses_vcc, 1
	.set _Z20warp_multiply_kernelIfEviiiPKiS1_PKT_S4_PS2_.uses_flat_scratch, 0
	.set _Z20warp_multiply_kernelIfEviiiPKiS1_PKT_S4_PS2_.has_dyn_sized_stack, 0
	.set _Z20warp_multiply_kernelIfEviiiPKiS1_PKT_S4_PS2_.has_recursion, 0
	.set _Z20warp_multiply_kernelIfEviiiPKiS1_PKT_S4_PS2_.has_indirect_call, 0
	.section	.AMDGPU.csdata,"",@progbits
; Kernel info:
; codeLenInByte = 736
; TotalNumSgprs: 22
; NumVgprs: 14
; ScratchSize: 0
; MemoryBound: 0
; FloatMode: 240
; IeeeMode: 1
; LDSByteSize: 1024 bytes/workgroup (compile time only)
; SGPRBlocks: 0
; VGPRBlocks: 1
; NumSGPRsForWavesPerEU: 22
; NumVGPRsForWavesPerEU: 14
; Occupancy: 16
; WaveLimiterHint : 1
; COMPUTE_PGM_RSRC2:SCRATCH_EN: 0
; COMPUTE_PGM_RSRC2:USER_SGPR: 6
; COMPUTE_PGM_RSRC2:TRAP_HANDLER: 0
; COMPUTE_PGM_RSRC2:TGID_X_EN: 1
; COMPUTE_PGM_RSRC2:TGID_Y_EN: 0
; COMPUTE_PGM_RSRC2:TGID_Z_EN: 0
; COMPUTE_PGM_RSRC2:TIDIG_COMP_CNT: 0
	.section	.text._Z18dot_product_kernelIfEviPKT_S2_PS0_,"axG",@progbits,_Z18dot_product_kernelIfEviPKT_S2_PS0_,comdat
	.protected	_Z18dot_product_kernelIfEviPKT_S2_PS0_ ; -- Begin function _Z18dot_product_kernelIfEviPKT_S2_PS0_
	.globl	_Z18dot_product_kernelIfEviPKT_S2_PS0_
	.p2align	8
	.type	_Z18dot_product_kernelIfEviPKT_S2_PS0_,@function
_Z18dot_product_kernelIfEviPKT_S2_PS0_: ; @_Z18dot_product_kernelIfEviPKT_S2_PS0_
; %bb.0:
	s_clause 0x3
	s_load_dword s7, s[4:5], 0x2c
	s_load_dword s10, s[4:5], 0x0
	s_load_dwordx2 s[8:9], s[4:5], 0x18
	s_load_dwordx4 s[0:3], s[4:5], 0x8
	s_waitcnt lgkmcnt(0)
	s_and_b32 s4, s7, 0xffff
	v_mad_u64_u32 v[1:2], null, s6, s4, v[0:1]
	v_mov_b32_e32 v2, 0
	s_mov_b32 s4, exec_lo
	v_cmpx_gt_i32_e64 s10, v1
	s_cbranch_execz .LBB1_2
; %bb.1:
	v_ashrrev_i32_e32 v2, 31, v1
	v_lshlrev_b64 v[1:2], 2, v[1:2]
	v_add_co_u32 v3, vcc_lo, s0, v1
	v_add_co_ci_u32_e64 v4, null, s1, v2, vcc_lo
	v_add_co_u32 v1, vcc_lo, s2, v1
	v_add_co_ci_u32_e64 v2, null, s3, v2, vcc_lo
	global_load_dword v3, v[3:4], off
	global_load_dword v1, v[1:2], off
	s_waitcnt vmcnt(0)
	v_mul_f32_e32 v2, v3, v1
.LBB1_2:
	s_or_b32 exec_lo, exec_lo, s4
	v_lshlrev_b32_e32 v1, 2, v0
	s_mov_b32 s0, exec_lo
	ds_write_b32 v1, v2
	s_waitcnt lgkmcnt(0)
	s_barrier
	buffer_gl0_inv
	v_cmpx_gt_u32_e32 0x80, v0
	s_cbranch_execz .LBB1_4
; %bb.3:
	ds_read2st64_b32 v[2:3], v1 offset1:2
	s_waitcnt lgkmcnt(0)
	v_add_f32_e32 v2, v3, v2
	ds_write_b32 v1, v2
.LBB1_4:
	s_or_b32 exec_lo, exec_lo, s0
	s_mov_b32 s0, exec_lo
	s_waitcnt lgkmcnt(0)
	s_barrier
	buffer_gl0_inv
	v_cmpx_gt_u32_e32 64, v0
	s_cbranch_execz .LBB1_6
; %bb.5:
	ds_read2st64_b32 v[2:3], v1 offset1:1
	s_waitcnt lgkmcnt(0)
	v_add_f32_e32 v2, v3, v2
	ds_write_b32 v1, v2
.LBB1_6:
	s_or_b32 exec_lo, exec_lo, s0
	s_mov_b32 s0, exec_lo
	s_waitcnt lgkmcnt(0)
	s_barrier
	buffer_gl0_inv
	v_cmpx_gt_u32_e32 32, v0
	s_cbranch_execz .LBB1_8
; %bb.7:
	ds_read2_b32 v[2:3], v1 offset1:32
	s_waitcnt lgkmcnt(0)
	v_add_f32_e32 v2, v3, v2
	ds_write_b32 v1, v2
.LBB1_8:
	s_or_b32 exec_lo, exec_lo, s0
	s_mov_b32 s0, exec_lo
	s_waitcnt lgkmcnt(0)
	s_barrier
	buffer_gl0_inv
	v_cmpx_gt_u32_e32 16, v0
	s_cbranch_execz .LBB1_10
; %bb.9:
	ds_read2_b32 v[2:3], v1 offset1:16
	s_waitcnt lgkmcnt(0)
	v_add_f32_e32 v2, v3, v2
	ds_write_b32 v1, v2
.LBB1_10:
	;; [unrolled: 13-line block ×5, first 2 shown]
	s_or_b32 exec_lo, exec_lo, s0
	v_cmp_eq_u32_e32 vcc_lo, 0, v0
	s_waitcnt lgkmcnt(0)
	s_barrier
	buffer_gl0_inv
	s_and_saveexec_b32 s0, vcc_lo
	s_cbranch_execz .LBB1_18
; %bb.17:
	ds_read2_b32 v[2:3], v1 offset1:1
	s_waitcnt lgkmcnt(0)
	v_add_f32_e32 v0, v3, v2
	ds_write_b32 v1, v0
.LBB1_18:
	s_or_b32 exec_lo, exec_lo, s0
	s_waitcnt lgkmcnt(0)
	s_barrier
	buffer_gl0_inv
	s_and_saveexec_b32 s0, vcc_lo
	s_cbranch_execz .LBB1_20
; %bb.19:
	v_mov_b32_e32 v0, 0
	s_mov_b32 s7, 0
	s_lshl_b64 s[0:1], s[6:7], 2
	s_add_u32 s0, s8, s0
	ds_read_b32 v1, v0
	s_addc_u32 s1, s9, s1
	s_waitcnt lgkmcnt(0)
	global_store_dword v0, v1, s[0:1]
.LBB1_20:
	s_endpgm
	.section	.rodata,"a",@progbits
	.p2align	6, 0x0
	.amdhsa_kernel _Z18dot_product_kernelIfEviPKT_S2_PS0_
		.amdhsa_group_segment_fixed_size 1024
		.amdhsa_private_segment_fixed_size 0
		.amdhsa_kernarg_size 288
		.amdhsa_user_sgpr_count 6
		.amdhsa_user_sgpr_private_segment_buffer 1
		.amdhsa_user_sgpr_dispatch_ptr 0
		.amdhsa_user_sgpr_queue_ptr 0
		.amdhsa_user_sgpr_kernarg_segment_ptr 1
		.amdhsa_user_sgpr_dispatch_id 0
		.amdhsa_user_sgpr_flat_scratch_init 0
		.amdhsa_user_sgpr_private_segment_size 0
		.amdhsa_wavefront_size32 1
		.amdhsa_uses_dynamic_stack 0
		.amdhsa_system_sgpr_private_segment_wavefront_offset 0
		.amdhsa_system_sgpr_workgroup_id_x 1
		.amdhsa_system_sgpr_workgroup_id_y 0
		.amdhsa_system_sgpr_workgroup_id_z 0
		.amdhsa_system_sgpr_workgroup_info 0
		.amdhsa_system_vgpr_workitem_id 0
		.amdhsa_next_free_vgpr 5
		.amdhsa_next_free_sgpr 11
		.amdhsa_reserve_vcc 1
		.amdhsa_reserve_flat_scratch 0
		.amdhsa_float_round_mode_32 0
		.amdhsa_float_round_mode_16_64 0
		.amdhsa_float_denorm_mode_32 3
		.amdhsa_float_denorm_mode_16_64 3
		.amdhsa_dx10_clamp 1
		.amdhsa_ieee_mode 1
		.amdhsa_fp16_overflow 0
		.amdhsa_workgroup_processor_mode 1
		.amdhsa_memory_ordered 1
		.amdhsa_forward_progress 1
		.amdhsa_shared_vgpr_count 0
		.amdhsa_exception_fp_ieee_invalid_op 0
		.amdhsa_exception_fp_denorm_src 0
		.amdhsa_exception_fp_ieee_div_zero 0
		.amdhsa_exception_fp_ieee_overflow 0
		.amdhsa_exception_fp_ieee_underflow 0
		.amdhsa_exception_fp_ieee_inexact 0
		.amdhsa_exception_int_div_zero 0
	.end_amdhsa_kernel
	.section	.text._Z18dot_product_kernelIfEviPKT_S2_PS0_,"axG",@progbits,_Z18dot_product_kernelIfEviPKT_S2_PS0_,comdat
.Lfunc_end1:
	.size	_Z18dot_product_kernelIfEviPKT_S2_PS0_, .Lfunc_end1-_Z18dot_product_kernelIfEviPKT_S2_PS0_
                                        ; -- End function
	.set _Z18dot_product_kernelIfEviPKT_S2_PS0_.num_vgpr, 5
	.set _Z18dot_product_kernelIfEviPKT_S2_PS0_.num_agpr, 0
	.set _Z18dot_product_kernelIfEviPKT_S2_PS0_.numbered_sgpr, 11
	.set _Z18dot_product_kernelIfEviPKT_S2_PS0_.num_named_barrier, 0
	.set _Z18dot_product_kernelIfEviPKT_S2_PS0_.private_seg_size, 0
	.set _Z18dot_product_kernelIfEviPKT_S2_PS0_.uses_vcc, 1
	.set _Z18dot_product_kernelIfEviPKT_S2_PS0_.uses_flat_scratch, 0
	.set _Z18dot_product_kernelIfEviPKT_S2_PS0_.has_dyn_sized_stack, 0
	.set _Z18dot_product_kernelIfEviPKT_S2_PS0_.has_recursion, 0
	.set _Z18dot_product_kernelIfEviPKT_S2_PS0_.has_indirect_call, 0
	.section	.AMDGPU.csdata,"",@progbits
; Kernel info:
; codeLenInByte = 680
; TotalNumSgprs: 13
; NumVgprs: 5
; ScratchSize: 0
; MemoryBound: 0
; FloatMode: 240
; IeeeMode: 1
; LDSByteSize: 1024 bytes/workgroup (compile time only)
; SGPRBlocks: 0
; VGPRBlocks: 0
; NumSGPRsForWavesPerEU: 13
; NumVGPRsForWavesPerEU: 5
; Occupancy: 16
; WaveLimiterHint : 0
; COMPUTE_PGM_RSRC2:SCRATCH_EN: 0
; COMPUTE_PGM_RSRC2:USER_SGPR: 6
; COMPUTE_PGM_RSRC2:TRAP_HANDLER: 0
; COMPUTE_PGM_RSRC2:TGID_X_EN: 1
; COMPUTE_PGM_RSRC2:TGID_Y_EN: 0
; COMPUTE_PGM_RSRC2:TGID_Z_EN: 0
; COMPUTE_PGM_RSRC2:TIDIG_COMP_CNT: 0
	.section	.text._Z20saxpy_inplace_kernelIfEviPT_PKS0_S0_,"axG",@progbits,_Z20saxpy_inplace_kernelIfEviPT_PKS0_S0_,comdat
	.protected	_Z20saxpy_inplace_kernelIfEviPT_PKS0_S0_ ; -- Begin function _Z20saxpy_inplace_kernelIfEviPT_PKS0_S0_
	.globl	_Z20saxpy_inplace_kernelIfEviPT_PKS0_S0_
	.p2align	8
	.type	_Z20saxpy_inplace_kernelIfEviPT_PKS0_S0_,@function
_Z20saxpy_inplace_kernelIfEviPT_PKS0_S0_: ; @_Z20saxpy_inplace_kernelIfEviPT_PKS0_S0_
; %bb.0:
	s_clause 0x1
	s_load_dword s0, s[4:5], 0x2c
	s_load_dword s1, s[4:5], 0x0
	s_waitcnt lgkmcnt(0)
	s_and_b32 s0, s0, 0xffff
	v_mad_u64_u32 v[0:1], null, s6, s0, v[0:1]
	s_mov_b32 s0, exec_lo
	v_cmpx_gt_i32_e64 s1, v0
	s_cbranch_execz .LBB2_2
; %bb.1:
	s_load_dwordx4 s[0:3], s[4:5], 0x8
	v_ashrrev_i32_e32 v1, 31, v0
	s_load_dword s4, s[4:5], 0x18
	v_lshlrev_b64 v[0:1], 2, v[0:1]
	s_waitcnt lgkmcnt(0)
	v_add_co_u32 v2, vcc_lo, s2, v0
	v_add_co_ci_u32_e64 v3, null, s3, v1, vcc_lo
	v_add_co_u32 v0, vcc_lo, s0, v0
	v_add_co_ci_u32_e64 v1, null, s1, v1, vcc_lo
	global_load_dword v2, v[2:3], off
	global_load_dword v3, v[0:1], off
	s_waitcnt vmcnt(0)
	v_fmac_f32_e32 v3, s4, v2
	global_store_dword v[0:1], v3, off
.LBB2_2:
	s_endpgm
	.section	.rodata,"a",@progbits
	.p2align	6, 0x0
	.amdhsa_kernel _Z20saxpy_inplace_kernelIfEviPT_PKS0_S0_
		.amdhsa_group_segment_fixed_size 0
		.amdhsa_private_segment_fixed_size 0
		.amdhsa_kernarg_size 288
		.amdhsa_user_sgpr_count 6
		.amdhsa_user_sgpr_private_segment_buffer 1
		.amdhsa_user_sgpr_dispatch_ptr 0
		.amdhsa_user_sgpr_queue_ptr 0
		.amdhsa_user_sgpr_kernarg_segment_ptr 1
		.amdhsa_user_sgpr_dispatch_id 0
		.amdhsa_user_sgpr_flat_scratch_init 0
		.amdhsa_user_sgpr_private_segment_size 0
		.amdhsa_wavefront_size32 1
		.amdhsa_uses_dynamic_stack 0
		.amdhsa_system_sgpr_private_segment_wavefront_offset 0
		.amdhsa_system_sgpr_workgroup_id_x 1
		.amdhsa_system_sgpr_workgroup_id_y 0
		.amdhsa_system_sgpr_workgroup_id_z 0
		.amdhsa_system_sgpr_workgroup_info 0
		.amdhsa_system_vgpr_workitem_id 0
		.amdhsa_next_free_vgpr 4
		.amdhsa_next_free_sgpr 7
		.amdhsa_reserve_vcc 1
		.amdhsa_reserve_flat_scratch 0
		.amdhsa_float_round_mode_32 0
		.amdhsa_float_round_mode_16_64 0
		.amdhsa_float_denorm_mode_32 3
		.amdhsa_float_denorm_mode_16_64 3
		.amdhsa_dx10_clamp 1
		.amdhsa_ieee_mode 1
		.amdhsa_fp16_overflow 0
		.amdhsa_workgroup_processor_mode 1
		.amdhsa_memory_ordered 1
		.amdhsa_forward_progress 1
		.amdhsa_shared_vgpr_count 0
		.amdhsa_exception_fp_ieee_invalid_op 0
		.amdhsa_exception_fp_denorm_src 0
		.amdhsa_exception_fp_ieee_div_zero 0
		.amdhsa_exception_fp_ieee_overflow 0
		.amdhsa_exception_fp_ieee_underflow 0
		.amdhsa_exception_fp_ieee_inexact 0
		.amdhsa_exception_int_div_zero 0
	.end_amdhsa_kernel
	.section	.text._Z20saxpy_inplace_kernelIfEviPT_PKS0_S0_,"axG",@progbits,_Z20saxpy_inplace_kernelIfEviPT_PKS0_S0_,comdat
.Lfunc_end2:
	.size	_Z20saxpy_inplace_kernelIfEviPT_PKS0_S0_, .Lfunc_end2-_Z20saxpy_inplace_kernelIfEviPT_PKS0_S0_
                                        ; -- End function
	.set _Z20saxpy_inplace_kernelIfEviPT_PKS0_S0_.num_vgpr, 4
	.set _Z20saxpy_inplace_kernelIfEviPT_PKS0_S0_.num_agpr, 0
	.set _Z20saxpy_inplace_kernelIfEviPT_PKS0_S0_.numbered_sgpr, 7
	.set _Z20saxpy_inplace_kernelIfEviPT_PKS0_S0_.num_named_barrier, 0
	.set _Z20saxpy_inplace_kernelIfEviPT_PKS0_S0_.private_seg_size, 0
	.set _Z20saxpy_inplace_kernelIfEviPT_PKS0_S0_.uses_vcc, 1
	.set _Z20saxpy_inplace_kernelIfEviPT_PKS0_S0_.uses_flat_scratch, 0
	.set _Z20saxpy_inplace_kernelIfEviPT_PKS0_S0_.has_dyn_sized_stack, 0
	.set _Z20saxpy_inplace_kernelIfEviPT_PKS0_S0_.has_recursion, 0
	.set _Z20saxpy_inplace_kernelIfEviPT_PKS0_S0_.has_indirect_call, 0
	.section	.AMDGPU.csdata,"",@progbits
; Kernel info:
; codeLenInByte = 156
; TotalNumSgprs: 9
; NumVgprs: 4
; ScratchSize: 0
; MemoryBound: 0
; FloatMode: 240
; IeeeMode: 1
; LDSByteSize: 0 bytes/workgroup (compile time only)
; SGPRBlocks: 0
; VGPRBlocks: 0
; NumSGPRsForWavesPerEU: 9
; NumVGPRsForWavesPerEU: 4
; Occupancy: 16
; WaveLimiterHint : 0
; COMPUTE_PGM_RSRC2:SCRATCH_EN: 0
; COMPUTE_PGM_RSRC2:USER_SGPR: 6
; COMPUTE_PGM_RSRC2:TRAP_HANDLER: 0
; COMPUTE_PGM_RSRC2:TGID_X_EN: 1
; COMPUTE_PGM_RSRC2:TGID_Y_EN: 0
; COMPUTE_PGM_RSRC2:TGID_Z_EN: 0
; COMPUTE_PGM_RSRC2:TIDIG_COMP_CNT: 0
	.section	.text._Z23multiply_inplace_kernelIfEviPT_S0_,"axG",@progbits,_Z23multiply_inplace_kernelIfEviPT_S0_,comdat
	.protected	_Z23multiply_inplace_kernelIfEviPT_S0_ ; -- Begin function _Z23multiply_inplace_kernelIfEviPT_S0_
	.globl	_Z23multiply_inplace_kernelIfEviPT_S0_
	.p2align	8
	.type	_Z23multiply_inplace_kernelIfEviPT_S0_,@function
_Z23multiply_inplace_kernelIfEviPT_S0_: ; @_Z23multiply_inplace_kernelIfEviPT_S0_
; %bb.0:
	s_clause 0x1
	s_load_dword s0, s[4:5], 0x24
	s_load_dword s1, s[4:5], 0x0
	s_waitcnt lgkmcnt(0)
	s_and_b32 s0, s0, 0xffff
	v_mad_u64_u32 v[0:1], null, s6, s0, v[0:1]
	s_mov_b32 s0, exec_lo
	v_cmpx_gt_i32_e64 s1, v0
	s_cbranch_execz .LBB3_2
; %bb.1:
	s_clause 0x1
	s_load_dwordx2 s[0:1], s[4:5], 0x8
	s_load_dword s2, s[4:5], 0x10
	v_ashrrev_i32_e32 v1, 31, v0
	v_lshlrev_b64 v[0:1], 2, v[0:1]
	s_waitcnt lgkmcnt(0)
	v_add_co_u32 v0, vcc_lo, s0, v0
	v_add_co_ci_u32_e64 v1, null, s1, v1, vcc_lo
	global_load_dword v2, v[0:1], off
	s_waitcnt vmcnt(0)
	v_mul_f32_e32 v2, s2, v2
	global_store_dword v[0:1], v2, off
.LBB3_2:
	s_endpgm
	.section	.rodata,"a",@progbits
	.p2align	6, 0x0
	.amdhsa_kernel _Z23multiply_inplace_kernelIfEviPT_S0_
		.amdhsa_group_segment_fixed_size 0
		.amdhsa_private_segment_fixed_size 0
		.amdhsa_kernarg_size 280
		.amdhsa_user_sgpr_count 6
		.amdhsa_user_sgpr_private_segment_buffer 1
		.amdhsa_user_sgpr_dispatch_ptr 0
		.amdhsa_user_sgpr_queue_ptr 0
		.amdhsa_user_sgpr_kernarg_segment_ptr 1
		.amdhsa_user_sgpr_dispatch_id 0
		.amdhsa_user_sgpr_flat_scratch_init 0
		.amdhsa_user_sgpr_private_segment_size 0
		.amdhsa_wavefront_size32 1
		.amdhsa_uses_dynamic_stack 0
		.amdhsa_system_sgpr_private_segment_wavefront_offset 0
		.amdhsa_system_sgpr_workgroup_id_x 1
		.amdhsa_system_sgpr_workgroup_id_y 0
		.amdhsa_system_sgpr_workgroup_id_z 0
		.amdhsa_system_sgpr_workgroup_info 0
		.amdhsa_system_vgpr_workitem_id 0
		.amdhsa_next_free_vgpr 3
		.amdhsa_next_free_sgpr 7
		.amdhsa_reserve_vcc 1
		.amdhsa_reserve_flat_scratch 0
		.amdhsa_float_round_mode_32 0
		.amdhsa_float_round_mode_16_64 0
		.amdhsa_float_denorm_mode_32 3
		.amdhsa_float_denorm_mode_16_64 3
		.amdhsa_dx10_clamp 1
		.amdhsa_ieee_mode 1
		.amdhsa_fp16_overflow 0
		.amdhsa_workgroup_processor_mode 1
		.amdhsa_memory_ordered 1
		.amdhsa_forward_progress 1
		.amdhsa_shared_vgpr_count 0
		.amdhsa_exception_fp_ieee_invalid_op 0
		.amdhsa_exception_fp_denorm_src 0
		.amdhsa_exception_fp_ieee_div_zero 0
		.amdhsa_exception_fp_ieee_overflow 0
		.amdhsa_exception_fp_ieee_underflow 0
		.amdhsa_exception_fp_ieee_inexact 0
		.amdhsa_exception_int_div_zero 0
	.end_amdhsa_kernel
	.section	.text._Z23multiply_inplace_kernelIfEviPT_S0_,"axG",@progbits,_Z23multiply_inplace_kernelIfEviPT_S0_,comdat
.Lfunc_end3:
	.size	_Z23multiply_inplace_kernelIfEviPT_S0_, .Lfunc_end3-_Z23multiply_inplace_kernelIfEviPT_S0_
                                        ; -- End function
	.set _Z23multiply_inplace_kernelIfEviPT_S0_.num_vgpr, 3
	.set _Z23multiply_inplace_kernelIfEviPT_S0_.num_agpr, 0
	.set _Z23multiply_inplace_kernelIfEviPT_S0_.numbered_sgpr, 7
	.set _Z23multiply_inplace_kernelIfEviPT_S0_.num_named_barrier, 0
	.set _Z23multiply_inplace_kernelIfEviPT_S0_.private_seg_size, 0
	.set _Z23multiply_inplace_kernelIfEviPT_S0_.uses_vcc, 1
	.set _Z23multiply_inplace_kernelIfEviPT_S0_.uses_flat_scratch, 0
	.set _Z23multiply_inplace_kernelIfEviPT_S0_.has_dyn_sized_stack, 0
	.set _Z23multiply_inplace_kernelIfEviPT_S0_.has_recursion, 0
	.set _Z23multiply_inplace_kernelIfEviPT_S0_.has_indirect_call, 0
	.section	.AMDGPU.csdata,"",@progbits
; Kernel info:
; codeLenInByte = 136
; TotalNumSgprs: 9
; NumVgprs: 3
; ScratchSize: 0
; MemoryBound: 0
; FloatMode: 240
; IeeeMode: 1
; LDSByteSize: 0 bytes/workgroup (compile time only)
; SGPRBlocks: 0
; VGPRBlocks: 0
; NumSGPRsForWavesPerEU: 9
; NumVGPRsForWavesPerEU: 3
; Occupancy: 16
; WaveLimiterHint : 0
; COMPUTE_PGM_RSRC2:SCRATCH_EN: 0
; COMPUTE_PGM_RSRC2:USER_SGPR: 6
; COMPUTE_PGM_RSRC2:TRAP_HANDLER: 0
; COMPUTE_PGM_RSRC2:TGID_X_EN: 1
; COMPUTE_PGM_RSRC2:TGID_Y_EN: 0
; COMPUTE_PGM_RSRC2:TGID_Z_EN: 0
; COMPUTE_PGM_RSRC2:TIDIG_COMP_CNT: 0
	.section	.text._Z20warp_multiply_kernelIdEviiiPKiS1_PKT_S4_PS2_,"axG",@progbits,_Z20warp_multiply_kernelIdEviiiPKiS1_PKT_S4_PS2_,comdat
	.protected	_Z20warp_multiply_kernelIdEviiiPKiS1_PKT_S4_PS2_ ; -- Begin function _Z20warp_multiply_kernelIdEviiiPKiS1_PKT_S4_PS2_
	.globl	_Z20warp_multiply_kernelIdEviiiPKiS1_PKT_S4_PS2_
	.p2align	8
	.type	_Z20warp_multiply_kernelIdEviiiPKiS1_PKT_S4_PS2_,@function
_Z20warp_multiply_kernelIdEviiiPKiS1_PKT_S4_PS2_: ; @_Z20warp_multiply_kernelIdEviiiPKiS1_PKT_S4_PS2_
; %bb.0:
	s_mov_b64 s[0:1], src_shared_base
	s_clause 0x1
	s_load_dwordx4 s[16:19], s[4:5], 0x0
	s_load_dword s0, s[4:5], 0x44
	s_waitcnt lgkmcnt(0)
	s_abs_i32 s2, s16
	s_and_b32 s0, s0, 0xffff
	v_cvt_f32_u32_e32 v1, s2
	s_sub_i32 s3, 0, s2
	v_rcp_iflag_f32_e32 v1, v1
	v_mul_f32_e32 v1, 0x4f7ffffe, v1
	v_cvt_u32_f32_e32 v1, v1
	v_mul_lo_u32 v2, s3, v1
	v_mad_u64_u32 v[5:6], null, s6, s0, v[0:1]
	v_mov_b32_e32 v6, 0
	s_mov_b32 s0, exec_lo
	v_mov_b32_e32 v7, v6
	v_mul_hi_u32 v2, v1, v2
	v_sub_nc_u32_e32 v3, 0, v5
	v_max_i32_e32 v3, v5, v3
	v_add_nc_u32_e32 v1, v1, v2
	v_mul_hi_u32 v1, v3, v1
	v_mul_lo_u32 v2, v1, s2
	v_sub_nc_u32_e32 v2, v3, v2
	v_add_nc_u32_e32 v3, 1, v1
	v_subrev_nc_u32_e32 v4, s2, v2
	v_cmp_le_u32_e32 vcc_lo, s2, v2
	v_cndmask_b32_e32 v1, v1, v3, vcc_lo
	v_cndmask_b32_e32 v2, v2, v4, vcc_lo
	v_xor_b32_e32 v3, s16, v5
	v_add_nc_u32_e32 v4, 1, v1
	v_cmp_le_u32_e32 vcc_lo, s2, v2
	v_ashrrev_i32_e32 v10, 31, v3
	v_lshlrev_b32_e32 v3, 3, v0
	v_cndmask_b32_e32 v1, v1, v4, vcc_lo
	v_mov_b32_e32 v4, s1
	v_xor_b32_e32 v11, v1, v10
	flat_store_dwordx2 v[3:4], v[6:7]
	s_waitcnt_vscnt null, 0x0
	v_sub_nc_u32_e32 v8, v11, v10
	v_add_nc_u32_e32 v1, s18, v8
	v_cmpx_gt_i32_e64 s17, v1
	s_cbranch_execz .LBB4_7
; %bb.1:
	s_load_dwordx8 s[8:15], s[4:5], 0x10
	v_ashrrev_i32_e32 v2, 31, v1
	s_load_dwordx2 s[2:3], s[4:5], 0x30
	v_mul_lo_u32 v0, v8, s16
	s_mov_b32 s1, exec_lo
	v_lshlrev_b64 v[6:7], 2, v[1:2]
	v_sub_nc_u32_e32 v0, v5, v0
	s_waitcnt lgkmcnt(0)
	v_add_co_u32 v6, vcc_lo, s8, v6
	v_add_co_ci_u32_e64 v7, null, s9, v7, vcc_lo
	global_load_dwordx2 v[6:7], v[6:7], off
	s_waitcnt vmcnt(0)
	v_add_nc_u32_e32 v8, v6, v0
	v_cmpx_lt_i32_e64 v8, v7
	s_cbranch_execz .LBB4_4
; %bb.2:
	v_ashrrev_i32_e32 v9, 31, v8
	v_sub_nc_u32_e32 v12, v10, v11
	s_ashr_i32 s17, s16, 31
	s_mov_b32 s8, 0
	s_lshl_b64 s[4:5], s[16:17], 3
	v_lshlrev_b64 v[10:11], 3, v[8:9]
	v_mul_lo_u32 v14, s16, v12
	v_lshlrev_b64 v[12:13], 2, v[8:9]
	s_lshl_b64 s[6:7], s[16:17], 2
	v_add_co_u32 v8, vcc_lo, s12, v10
	v_add_co_ci_u32_e64 v9, null, s13, v11, vcc_lo
	v_add3_u32 v10, v5, v6, v14
	v_add_co_u32 v5, vcc_lo, s10, v12
	v_add_co_ci_u32_e64 v6, null, s11, v13, vcc_lo
	.p2align	6
.LBB4_3:                                ; =>This Inner Loop Header: Depth=1
	global_load_dword v11, v[5:6], off
	v_add_nc_u32_e32 v10, s16, v10
	v_add_co_u32 v5, s0, v5, s6
	v_add_co_ci_u32_e64 v6, null, s7, v6, s0
	s_waitcnt vmcnt(0)
	v_ashrrev_i32_e32 v12, 31, v11
	v_lshlrev_b64 v[11:12], 3, v[11:12]
	v_add_co_u32 v11, vcc_lo, s14, v11
	v_add_co_ci_u32_e64 v12, null, s15, v12, vcc_lo
	global_load_dwordx2 v[13:14], v[8:9], off
	global_load_dwordx2 v[11:12], v[11:12], off
	flat_load_dwordx2 v[15:16], v[3:4] glc dlc
	s_waitcnt vmcnt(0)
	v_add_co_u32 v8, vcc_lo, v8, s4
	v_add_co_ci_u32_e64 v9, null, s5, v9, vcc_lo
	v_cmp_ge_i32_e32 vcc_lo, v10, v7
	s_or_b32 s8, vcc_lo, s8
	s_waitcnt lgkmcnt(0)
	v_fma_f64 v[11:12], v[13:14], v[11:12], v[15:16]
	flat_store_dwordx2 v[3:4], v[11:12]
	s_waitcnt_vscnt null, 0x0
	s_andn2_b32 exec_lo, exec_lo, s8
	s_cbranch_execnz .LBB4_3
.LBB4_4:
	s_or_b32 exec_lo, exec_lo, s1
	s_cmp_lt_i32 s16, 2
	s_cbranch_scc0 .LBB4_9
.LBB4_5:
	v_cmp_eq_u32_e32 vcc_lo, 0, v0
	s_and_b32 exec_lo, exec_lo, vcc_lo
	s_cbranch_execz .LBB4_7
; %bb.6:
	flat_load_dwordx2 v[3:4], v[3:4] glc dlc
	s_waitcnt vmcnt(0)
	v_lshlrev_b64 v[0:1], 3, v[1:2]
	v_add_co_u32 v0, vcc_lo, s2, v0
	v_add_co_ci_u32_e64 v1, null, s3, v1, vcc_lo
	s_waitcnt lgkmcnt(0)
	global_store_dwordx2 v[0:1], v[3:4], off
.LBB4_7:
	s_endpgm
	.p2align	6
.LBB4_8:                                ;   in Loop: Header=BB4_9 Depth=1
	s_or_b32 exec_lo, exec_lo, s1
	s_cmp_gt_u32 s16, 3
	s_mov_b32 s16, s0
	s_cbranch_scc0 .LBB4_5
.LBB4_9:                                ; =>This Inner Loop Header: Depth=1
	s_lshr_b32 s0, s16, 1
	s_mov_b32 s1, exec_lo
	v_cmpx_gt_i32_e64 s0, v0
	s_cbranch_execz .LBB4_8
; %bb.10:                               ;   in Loop: Header=BB4_9 Depth=1
	s_mov_b64 s[4:5], src_shared_base
	v_lshl_add_u32 v5, s0, 3, v3
	v_mov_b32_e32 v6, s5
	flat_load_dwordx2 v[5:6], v[5:6] glc dlc
	s_waitcnt vmcnt(0)
	flat_load_dwordx2 v[7:8], v[3:4] glc dlc
	s_waitcnt vmcnt(0) lgkmcnt(0)
	v_add_f64 v[5:6], v[5:6], v[7:8]
	flat_store_dwordx2 v[3:4], v[5:6]
	s_waitcnt_vscnt null, 0x0
	s_branch .LBB4_8
	.section	.rodata,"a",@progbits
	.p2align	6, 0x0
	.amdhsa_kernel _Z20warp_multiply_kernelIdEviiiPKiS1_PKT_S4_PS2_
		.amdhsa_group_segment_fixed_size 2048
		.amdhsa_private_segment_fixed_size 0
		.amdhsa_kernarg_size 312
		.amdhsa_user_sgpr_count 6
		.amdhsa_user_sgpr_private_segment_buffer 1
		.amdhsa_user_sgpr_dispatch_ptr 0
		.amdhsa_user_sgpr_queue_ptr 0
		.amdhsa_user_sgpr_kernarg_segment_ptr 1
		.amdhsa_user_sgpr_dispatch_id 0
		.amdhsa_user_sgpr_flat_scratch_init 0
		.amdhsa_user_sgpr_private_segment_size 0
		.amdhsa_wavefront_size32 1
		.amdhsa_uses_dynamic_stack 0
		.amdhsa_system_sgpr_private_segment_wavefront_offset 0
		.amdhsa_system_sgpr_workgroup_id_x 1
		.amdhsa_system_sgpr_workgroup_id_y 0
		.amdhsa_system_sgpr_workgroup_id_z 0
		.amdhsa_system_sgpr_workgroup_info 0
		.amdhsa_system_vgpr_workitem_id 0
		.amdhsa_next_free_vgpr 17
		.amdhsa_next_free_sgpr 20
		.amdhsa_reserve_vcc 1
		.amdhsa_reserve_flat_scratch 0
		.amdhsa_float_round_mode_32 0
		.amdhsa_float_round_mode_16_64 0
		.amdhsa_float_denorm_mode_32 3
		.amdhsa_float_denorm_mode_16_64 3
		.amdhsa_dx10_clamp 1
		.amdhsa_ieee_mode 1
		.amdhsa_fp16_overflow 0
		.amdhsa_workgroup_processor_mode 1
		.amdhsa_memory_ordered 1
		.amdhsa_forward_progress 1
		.amdhsa_shared_vgpr_count 0
		.amdhsa_exception_fp_ieee_invalid_op 0
		.amdhsa_exception_fp_denorm_src 0
		.amdhsa_exception_fp_ieee_div_zero 0
		.amdhsa_exception_fp_ieee_overflow 0
		.amdhsa_exception_fp_ieee_underflow 0
		.amdhsa_exception_fp_ieee_inexact 0
		.amdhsa_exception_int_div_zero 0
	.end_amdhsa_kernel
	.section	.text._Z20warp_multiply_kernelIdEviiiPKiS1_PKT_S4_PS2_,"axG",@progbits,_Z20warp_multiply_kernelIdEviiiPKiS1_PKT_S4_PS2_,comdat
.Lfunc_end4:
	.size	_Z20warp_multiply_kernelIdEviiiPKiS1_PKT_S4_PS2_, .Lfunc_end4-_Z20warp_multiply_kernelIdEviiiPKiS1_PKT_S4_PS2_
                                        ; -- End function
	.set _Z20warp_multiply_kernelIdEviiiPKiS1_PKT_S4_PS2_.num_vgpr, 17
	.set _Z20warp_multiply_kernelIdEviiiPKiS1_PKT_S4_PS2_.num_agpr, 0
	.set _Z20warp_multiply_kernelIdEviiiPKiS1_PKT_S4_PS2_.numbered_sgpr, 20
	.set _Z20warp_multiply_kernelIdEviiiPKiS1_PKT_S4_PS2_.num_named_barrier, 0
	.set _Z20warp_multiply_kernelIdEviiiPKiS1_PKT_S4_PS2_.private_seg_size, 0
	.set _Z20warp_multiply_kernelIdEviiiPKiS1_PKT_S4_PS2_.uses_vcc, 1
	.set _Z20warp_multiply_kernelIdEviiiPKiS1_PKT_S4_PS2_.uses_flat_scratch, 0
	.set _Z20warp_multiply_kernelIdEviiiPKiS1_PKT_S4_PS2_.has_dyn_sized_stack, 0
	.set _Z20warp_multiply_kernelIdEviiiPKiS1_PKT_S4_PS2_.has_recursion, 0
	.set _Z20warp_multiply_kernelIdEviiiPKiS1_PKT_S4_PS2_.has_indirect_call, 0
	.section	.AMDGPU.csdata,"",@progbits
; Kernel info:
; codeLenInByte = 804
; TotalNumSgprs: 22
; NumVgprs: 17
; ScratchSize: 0
; MemoryBound: 1
; FloatMode: 240
; IeeeMode: 1
; LDSByteSize: 2048 bytes/workgroup (compile time only)
; SGPRBlocks: 0
; VGPRBlocks: 2
; NumSGPRsForWavesPerEU: 22
; NumVGPRsForWavesPerEU: 17
; Occupancy: 16
; WaveLimiterHint : 1
; COMPUTE_PGM_RSRC2:SCRATCH_EN: 0
; COMPUTE_PGM_RSRC2:USER_SGPR: 6
; COMPUTE_PGM_RSRC2:TRAP_HANDLER: 0
; COMPUTE_PGM_RSRC2:TGID_X_EN: 1
; COMPUTE_PGM_RSRC2:TGID_Y_EN: 0
; COMPUTE_PGM_RSRC2:TGID_Z_EN: 0
; COMPUTE_PGM_RSRC2:TIDIG_COMP_CNT: 0
	.section	.text._Z18dot_product_kernelIdEviPKT_S2_PS0_,"axG",@progbits,_Z18dot_product_kernelIdEviPKT_S2_PS0_,comdat
	.protected	_Z18dot_product_kernelIdEviPKT_S2_PS0_ ; -- Begin function _Z18dot_product_kernelIdEviPKT_S2_PS0_
	.globl	_Z18dot_product_kernelIdEviPKT_S2_PS0_
	.p2align	8
	.type	_Z18dot_product_kernelIdEviPKT_S2_PS0_,@function
_Z18dot_product_kernelIdEviPKT_S2_PS0_: ; @_Z18dot_product_kernelIdEviPKT_S2_PS0_
; %bb.0:
	s_clause 0x3
	s_load_dword s7, s[4:5], 0x2c
	s_load_dword s10, s[4:5], 0x0
	s_load_dwordx2 s[8:9], s[4:5], 0x18
	s_load_dwordx4 s[0:3], s[4:5], 0x8
	s_waitcnt lgkmcnt(0)
	s_and_b32 s4, s7, 0xffff
	v_mad_u64_u32 v[3:4], null, s6, s4, v[0:1]
	v_mov_b32_e32 v1, 0
	v_mov_b32_e32 v2, 0
	s_mov_b32 s4, exec_lo
	v_cmpx_gt_i32_e64 s10, v3
	s_cbranch_execz .LBB5_2
; %bb.1:
	v_ashrrev_i32_e32 v4, 31, v3
	v_lshlrev_b64 v[1:2], 3, v[3:4]
	v_add_co_u32 v3, vcc_lo, s0, v1
	v_add_co_ci_u32_e64 v4, null, s1, v2, vcc_lo
	v_add_co_u32 v1, vcc_lo, s2, v1
	v_add_co_ci_u32_e64 v2, null, s3, v2, vcc_lo
	global_load_dwordx2 v[3:4], v[3:4], off
	global_load_dwordx2 v[1:2], v[1:2], off
	s_waitcnt vmcnt(0)
	v_mul_f64 v[1:2], v[3:4], v[1:2]
.LBB5_2:
	s_or_b32 exec_lo, exec_lo, s4
	v_lshlrev_b32_e32 v3, 3, v0
	s_mov_b32 s0, exec_lo
	ds_write_b64 v3, v[1:2]
	s_waitcnt lgkmcnt(0)
	s_barrier
	buffer_gl0_inv
	v_cmpx_gt_u32_e32 0x80, v0
	s_cbranch_execz .LBB5_4
; %bb.3:
	ds_read2st64_b64 v[4:7], v3 offset1:2
	s_waitcnt lgkmcnt(0)
	v_add_f64 v[1:2], v[6:7], v[4:5]
	ds_write_b64 v3, v[1:2]
.LBB5_4:
	s_or_b32 exec_lo, exec_lo, s0
	s_mov_b32 s0, exec_lo
	s_waitcnt lgkmcnt(0)
	s_barrier
	buffer_gl0_inv
	v_cmpx_gt_u32_e32 64, v0
	s_cbranch_execz .LBB5_6
; %bb.5:
	ds_read2st64_b64 v[4:7], v3 offset1:1
	s_waitcnt lgkmcnt(0)
	v_add_f64 v[1:2], v[6:7], v[4:5]
	ds_write_b64 v3, v[1:2]
.LBB5_6:
	s_or_b32 exec_lo, exec_lo, s0
	s_mov_b32 s0, exec_lo
	s_waitcnt lgkmcnt(0)
	s_barrier
	buffer_gl0_inv
	v_cmpx_gt_u32_e32 32, v0
	s_cbranch_execz .LBB5_8
; %bb.7:
	ds_read2_b64 v[4:7], v3 offset1:32
	s_waitcnt lgkmcnt(0)
	v_add_f64 v[1:2], v[6:7], v[4:5]
	ds_write_b64 v3, v[1:2]
.LBB5_8:
	s_or_b32 exec_lo, exec_lo, s0
	s_mov_b32 s0, exec_lo
	s_waitcnt lgkmcnt(0)
	s_barrier
	buffer_gl0_inv
	v_cmpx_gt_u32_e32 16, v0
	s_cbranch_execz .LBB5_10
; %bb.9:
	ds_read2_b64 v[4:7], v3 offset1:16
	s_waitcnt lgkmcnt(0)
	v_add_f64 v[1:2], v[6:7], v[4:5]
	ds_write_b64 v3, v[1:2]
.LBB5_10:
	;; [unrolled: 13-line block ×5, first 2 shown]
	s_or_b32 exec_lo, exec_lo, s0
	v_cmp_eq_u32_e32 vcc_lo, 0, v0
	s_waitcnt lgkmcnt(0)
	s_barrier
	buffer_gl0_inv
	s_and_saveexec_b32 s0, vcc_lo
	s_cbranch_execz .LBB5_18
; %bb.17:
	ds_read2_b64 v[4:7], v3 offset1:1
	s_waitcnt lgkmcnt(0)
	v_add_f64 v[0:1], v[6:7], v[4:5]
	ds_write_b64 v3, v[0:1]
.LBB5_18:
	s_or_b32 exec_lo, exec_lo, s0
	s_waitcnt lgkmcnt(0)
	s_barrier
	buffer_gl0_inv
	s_and_saveexec_b32 s0, vcc_lo
	s_cbranch_execz .LBB5_20
; %bb.19:
	v_mov_b32_e32 v2, 0
	s_mov_b32 s7, 0
	s_lshl_b64 s[0:1], s[6:7], 3
	s_add_u32 s0, s8, s0
	ds_read_b64 v[0:1], v2
	s_addc_u32 s1, s9, s1
	s_waitcnt lgkmcnt(0)
	global_store_dwordx2 v2, v[0:1], s[0:1]
.LBB5_20:
	s_endpgm
	.section	.rodata,"a",@progbits
	.p2align	6, 0x0
	.amdhsa_kernel _Z18dot_product_kernelIdEviPKT_S2_PS0_
		.amdhsa_group_segment_fixed_size 2048
		.amdhsa_private_segment_fixed_size 0
		.amdhsa_kernarg_size 288
		.amdhsa_user_sgpr_count 6
		.amdhsa_user_sgpr_private_segment_buffer 1
		.amdhsa_user_sgpr_dispatch_ptr 0
		.amdhsa_user_sgpr_queue_ptr 0
		.amdhsa_user_sgpr_kernarg_segment_ptr 1
		.amdhsa_user_sgpr_dispatch_id 0
		.amdhsa_user_sgpr_flat_scratch_init 0
		.amdhsa_user_sgpr_private_segment_size 0
		.amdhsa_wavefront_size32 1
		.amdhsa_uses_dynamic_stack 0
		.amdhsa_system_sgpr_private_segment_wavefront_offset 0
		.amdhsa_system_sgpr_workgroup_id_x 1
		.amdhsa_system_sgpr_workgroup_id_y 0
		.amdhsa_system_sgpr_workgroup_id_z 0
		.amdhsa_system_sgpr_workgroup_info 0
		.amdhsa_system_vgpr_workitem_id 0
		.amdhsa_next_free_vgpr 8
		.amdhsa_next_free_sgpr 11
		.amdhsa_reserve_vcc 1
		.amdhsa_reserve_flat_scratch 0
		.amdhsa_float_round_mode_32 0
		.amdhsa_float_round_mode_16_64 0
		.amdhsa_float_denorm_mode_32 3
		.amdhsa_float_denorm_mode_16_64 3
		.amdhsa_dx10_clamp 1
		.amdhsa_ieee_mode 1
		.amdhsa_fp16_overflow 0
		.amdhsa_workgroup_processor_mode 1
		.amdhsa_memory_ordered 1
		.amdhsa_forward_progress 1
		.amdhsa_shared_vgpr_count 0
		.amdhsa_exception_fp_ieee_invalid_op 0
		.amdhsa_exception_fp_denorm_src 0
		.amdhsa_exception_fp_ieee_div_zero 0
		.amdhsa_exception_fp_ieee_overflow 0
		.amdhsa_exception_fp_ieee_underflow 0
		.amdhsa_exception_fp_ieee_inexact 0
		.amdhsa_exception_int_div_zero 0
	.end_amdhsa_kernel
	.section	.text._Z18dot_product_kernelIdEviPKT_S2_PS0_,"axG",@progbits,_Z18dot_product_kernelIdEviPKT_S2_PS0_,comdat
.Lfunc_end5:
	.size	_Z18dot_product_kernelIdEviPKT_S2_PS0_, .Lfunc_end5-_Z18dot_product_kernelIdEviPKT_S2_PS0_
                                        ; -- End function
	.set _Z18dot_product_kernelIdEviPKT_S2_PS0_.num_vgpr, 8
	.set _Z18dot_product_kernelIdEviPKT_S2_PS0_.num_agpr, 0
	.set _Z18dot_product_kernelIdEviPKT_S2_PS0_.numbered_sgpr, 11
	.set _Z18dot_product_kernelIdEviPKT_S2_PS0_.num_named_barrier, 0
	.set _Z18dot_product_kernelIdEviPKT_S2_PS0_.private_seg_size, 0
	.set _Z18dot_product_kernelIdEviPKT_S2_PS0_.uses_vcc, 1
	.set _Z18dot_product_kernelIdEviPKT_S2_PS0_.uses_flat_scratch, 0
	.set _Z18dot_product_kernelIdEviPKT_S2_PS0_.has_dyn_sized_stack, 0
	.set _Z18dot_product_kernelIdEviPKT_S2_PS0_.has_recursion, 0
	.set _Z18dot_product_kernelIdEviPKT_S2_PS0_.has_indirect_call, 0
	.section	.AMDGPU.csdata,"",@progbits
; Kernel info:
; codeLenInByte = 720
; TotalNumSgprs: 13
; NumVgprs: 8
; ScratchSize: 0
; MemoryBound: 0
; FloatMode: 240
; IeeeMode: 1
; LDSByteSize: 2048 bytes/workgroup (compile time only)
; SGPRBlocks: 0
; VGPRBlocks: 0
; NumSGPRsForWavesPerEU: 13
; NumVGPRsForWavesPerEU: 8
; Occupancy: 16
; WaveLimiterHint : 0
; COMPUTE_PGM_RSRC2:SCRATCH_EN: 0
; COMPUTE_PGM_RSRC2:USER_SGPR: 6
; COMPUTE_PGM_RSRC2:TRAP_HANDLER: 0
; COMPUTE_PGM_RSRC2:TGID_X_EN: 1
; COMPUTE_PGM_RSRC2:TGID_Y_EN: 0
; COMPUTE_PGM_RSRC2:TGID_Z_EN: 0
; COMPUTE_PGM_RSRC2:TIDIG_COMP_CNT: 0
	.section	.text._Z20saxpy_inplace_kernelIdEviPT_PKS0_S0_,"axG",@progbits,_Z20saxpy_inplace_kernelIdEviPT_PKS0_S0_,comdat
	.protected	_Z20saxpy_inplace_kernelIdEviPT_PKS0_S0_ ; -- Begin function _Z20saxpy_inplace_kernelIdEviPT_PKS0_S0_
	.globl	_Z20saxpy_inplace_kernelIdEviPT_PKS0_S0_
	.p2align	8
	.type	_Z20saxpy_inplace_kernelIdEviPT_PKS0_S0_,@function
_Z20saxpy_inplace_kernelIdEviPT_PKS0_S0_: ; @_Z20saxpy_inplace_kernelIdEviPT_PKS0_S0_
; %bb.0:
	s_clause 0x1
	s_load_dword s0, s[4:5], 0x2c
	s_load_dword s1, s[4:5], 0x0
	s_waitcnt lgkmcnt(0)
	s_and_b32 s0, s0, 0xffff
	v_mad_u64_u32 v[0:1], null, s6, s0, v[0:1]
	s_mov_b32 s0, exec_lo
	v_cmpx_gt_i32_e64 s1, v0
	s_cbranch_execz .LBB6_2
; %bb.1:
	s_load_dwordx4 s[0:3], s[4:5], 0x8
	v_ashrrev_i32_e32 v1, 31, v0
	s_load_dwordx2 s[4:5], s[4:5], 0x18
	v_lshlrev_b64 v[0:1], 3, v[0:1]
	s_waitcnt lgkmcnt(0)
	v_add_co_u32 v2, vcc_lo, s2, v0
	v_add_co_ci_u32_e64 v3, null, s3, v1, vcc_lo
	v_add_co_u32 v0, vcc_lo, s0, v0
	v_add_co_ci_u32_e64 v1, null, s1, v1, vcc_lo
	global_load_dwordx2 v[2:3], v[2:3], off
	global_load_dwordx2 v[4:5], v[0:1], off
	s_waitcnt vmcnt(0)
	v_fma_f64 v[2:3], s[4:5], v[2:3], v[4:5]
	global_store_dwordx2 v[0:1], v[2:3], off
.LBB6_2:
	s_endpgm
	.section	.rodata,"a",@progbits
	.p2align	6, 0x0
	.amdhsa_kernel _Z20saxpy_inplace_kernelIdEviPT_PKS0_S0_
		.amdhsa_group_segment_fixed_size 0
		.amdhsa_private_segment_fixed_size 0
		.amdhsa_kernarg_size 288
		.amdhsa_user_sgpr_count 6
		.amdhsa_user_sgpr_private_segment_buffer 1
		.amdhsa_user_sgpr_dispatch_ptr 0
		.amdhsa_user_sgpr_queue_ptr 0
		.amdhsa_user_sgpr_kernarg_segment_ptr 1
		.amdhsa_user_sgpr_dispatch_id 0
		.amdhsa_user_sgpr_flat_scratch_init 0
		.amdhsa_user_sgpr_private_segment_size 0
		.amdhsa_wavefront_size32 1
		.amdhsa_uses_dynamic_stack 0
		.amdhsa_system_sgpr_private_segment_wavefront_offset 0
		.amdhsa_system_sgpr_workgroup_id_x 1
		.amdhsa_system_sgpr_workgroup_id_y 0
		.amdhsa_system_sgpr_workgroup_id_z 0
		.amdhsa_system_sgpr_workgroup_info 0
		.amdhsa_system_vgpr_workitem_id 0
		.amdhsa_next_free_vgpr 6
		.amdhsa_next_free_sgpr 7
		.amdhsa_reserve_vcc 1
		.amdhsa_reserve_flat_scratch 0
		.amdhsa_float_round_mode_32 0
		.amdhsa_float_round_mode_16_64 0
		.amdhsa_float_denorm_mode_32 3
		.amdhsa_float_denorm_mode_16_64 3
		.amdhsa_dx10_clamp 1
		.amdhsa_ieee_mode 1
		.amdhsa_fp16_overflow 0
		.amdhsa_workgroup_processor_mode 1
		.amdhsa_memory_ordered 1
		.amdhsa_forward_progress 1
		.amdhsa_shared_vgpr_count 0
		.amdhsa_exception_fp_ieee_invalid_op 0
		.amdhsa_exception_fp_denorm_src 0
		.amdhsa_exception_fp_ieee_div_zero 0
		.amdhsa_exception_fp_ieee_overflow 0
		.amdhsa_exception_fp_ieee_underflow 0
		.amdhsa_exception_fp_ieee_inexact 0
		.amdhsa_exception_int_div_zero 0
	.end_amdhsa_kernel
	.section	.text._Z20saxpy_inplace_kernelIdEviPT_PKS0_S0_,"axG",@progbits,_Z20saxpy_inplace_kernelIdEviPT_PKS0_S0_,comdat
.Lfunc_end6:
	.size	_Z20saxpy_inplace_kernelIdEviPT_PKS0_S0_, .Lfunc_end6-_Z20saxpy_inplace_kernelIdEviPT_PKS0_S0_
                                        ; -- End function
	.set _Z20saxpy_inplace_kernelIdEviPT_PKS0_S0_.num_vgpr, 6
	.set _Z20saxpy_inplace_kernelIdEviPT_PKS0_S0_.num_agpr, 0
	.set _Z20saxpy_inplace_kernelIdEviPT_PKS0_S0_.numbered_sgpr, 7
	.set _Z20saxpy_inplace_kernelIdEviPT_PKS0_S0_.num_named_barrier, 0
	.set _Z20saxpy_inplace_kernelIdEviPT_PKS0_S0_.private_seg_size, 0
	.set _Z20saxpy_inplace_kernelIdEviPT_PKS0_S0_.uses_vcc, 1
	.set _Z20saxpy_inplace_kernelIdEviPT_PKS0_S0_.uses_flat_scratch, 0
	.set _Z20saxpy_inplace_kernelIdEviPT_PKS0_S0_.has_dyn_sized_stack, 0
	.set _Z20saxpy_inplace_kernelIdEviPT_PKS0_S0_.has_recursion, 0
	.set _Z20saxpy_inplace_kernelIdEviPT_PKS0_S0_.has_indirect_call, 0
	.section	.AMDGPU.csdata,"",@progbits
; Kernel info:
; codeLenInByte = 160
; TotalNumSgprs: 9
; NumVgprs: 6
; ScratchSize: 0
; MemoryBound: 0
; FloatMode: 240
; IeeeMode: 1
; LDSByteSize: 0 bytes/workgroup (compile time only)
; SGPRBlocks: 0
; VGPRBlocks: 0
; NumSGPRsForWavesPerEU: 9
; NumVGPRsForWavesPerEU: 6
; Occupancy: 16
; WaveLimiterHint : 0
; COMPUTE_PGM_RSRC2:SCRATCH_EN: 0
; COMPUTE_PGM_RSRC2:USER_SGPR: 6
; COMPUTE_PGM_RSRC2:TRAP_HANDLER: 0
; COMPUTE_PGM_RSRC2:TGID_X_EN: 1
; COMPUTE_PGM_RSRC2:TGID_Y_EN: 0
; COMPUTE_PGM_RSRC2:TGID_Z_EN: 0
; COMPUTE_PGM_RSRC2:TIDIG_COMP_CNT: 0
	.section	.text._Z23multiply_inplace_kernelIdEviPT_S0_,"axG",@progbits,_Z23multiply_inplace_kernelIdEviPT_S0_,comdat
	.protected	_Z23multiply_inplace_kernelIdEviPT_S0_ ; -- Begin function _Z23multiply_inplace_kernelIdEviPT_S0_
	.globl	_Z23multiply_inplace_kernelIdEviPT_S0_
	.p2align	8
	.type	_Z23multiply_inplace_kernelIdEviPT_S0_,@function
_Z23multiply_inplace_kernelIdEviPT_S0_: ; @_Z23multiply_inplace_kernelIdEviPT_S0_
; %bb.0:
	s_clause 0x1
	s_load_dword s0, s[4:5], 0x24
	s_load_dword s1, s[4:5], 0x0
	s_waitcnt lgkmcnt(0)
	s_and_b32 s0, s0, 0xffff
	v_mad_u64_u32 v[0:1], null, s6, s0, v[0:1]
	s_mov_b32 s0, exec_lo
	v_cmpx_gt_i32_e64 s1, v0
	s_cbranch_execz .LBB7_2
; %bb.1:
	s_load_dwordx4 s[0:3], s[4:5], 0x8
	v_ashrrev_i32_e32 v1, 31, v0
	v_lshlrev_b64 v[0:1], 3, v[0:1]
	s_waitcnt lgkmcnt(0)
	v_add_co_u32 v0, vcc_lo, s0, v0
	v_add_co_ci_u32_e64 v1, null, s1, v1, vcc_lo
	global_load_dwordx2 v[2:3], v[0:1], off
	s_waitcnt vmcnt(0)
	v_mul_f64 v[2:3], s[2:3], v[2:3]
	global_store_dwordx2 v[0:1], v[2:3], off
.LBB7_2:
	s_endpgm
	.section	.rodata,"a",@progbits
	.p2align	6, 0x0
	.amdhsa_kernel _Z23multiply_inplace_kernelIdEviPT_S0_
		.amdhsa_group_segment_fixed_size 0
		.amdhsa_private_segment_fixed_size 0
		.amdhsa_kernarg_size 280
		.amdhsa_user_sgpr_count 6
		.amdhsa_user_sgpr_private_segment_buffer 1
		.amdhsa_user_sgpr_dispatch_ptr 0
		.amdhsa_user_sgpr_queue_ptr 0
		.amdhsa_user_sgpr_kernarg_segment_ptr 1
		.amdhsa_user_sgpr_dispatch_id 0
		.amdhsa_user_sgpr_flat_scratch_init 0
		.amdhsa_user_sgpr_private_segment_size 0
		.amdhsa_wavefront_size32 1
		.amdhsa_uses_dynamic_stack 0
		.amdhsa_system_sgpr_private_segment_wavefront_offset 0
		.amdhsa_system_sgpr_workgroup_id_x 1
		.amdhsa_system_sgpr_workgroup_id_y 0
		.amdhsa_system_sgpr_workgroup_id_z 0
		.amdhsa_system_sgpr_workgroup_info 0
		.amdhsa_system_vgpr_workitem_id 0
		.amdhsa_next_free_vgpr 4
		.amdhsa_next_free_sgpr 7
		.amdhsa_reserve_vcc 1
		.amdhsa_reserve_flat_scratch 0
		.amdhsa_float_round_mode_32 0
		.amdhsa_float_round_mode_16_64 0
		.amdhsa_float_denorm_mode_32 3
		.amdhsa_float_denorm_mode_16_64 3
		.amdhsa_dx10_clamp 1
		.amdhsa_ieee_mode 1
		.amdhsa_fp16_overflow 0
		.amdhsa_workgroup_processor_mode 1
		.amdhsa_memory_ordered 1
		.amdhsa_forward_progress 1
		.amdhsa_shared_vgpr_count 0
		.amdhsa_exception_fp_ieee_invalid_op 0
		.amdhsa_exception_fp_denorm_src 0
		.amdhsa_exception_fp_ieee_div_zero 0
		.amdhsa_exception_fp_ieee_overflow 0
		.amdhsa_exception_fp_ieee_underflow 0
		.amdhsa_exception_fp_ieee_inexact 0
		.amdhsa_exception_int_div_zero 0
	.end_amdhsa_kernel
	.section	.text._Z23multiply_inplace_kernelIdEviPT_S0_,"axG",@progbits,_Z23multiply_inplace_kernelIdEviPT_S0_,comdat
.Lfunc_end7:
	.size	_Z23multiply_inplace_kernelIdEviPT_S0_, .Lfunc_end7-_Z23multiply_inplace_kernelIdEviPT_S0_
                                        ; -- End function
	.set _Z23multiply_inplace_kernelIdEviPT_S0_.num_vgpr, 4
	.set _Z23multiply_inplace_kernelIdEviPT_S0_.num_agpr, 0
	.set _Z23multiply_inplace_kernelIdEviPT_S0_.numbered_sgpr, 7
	.set _Z23multiply_inplace_kernelIdEviPT_S0_.num_named_barrier, 0
	.set _Z23multiply_inplace_kernelIdEviPT_S0_.private_seg_size, 0
	.set _Z23multiply_inplace_kernelIdEviPT_S0_.uses_vcc, 1
	.set _Z23multiply_inplace_kernelIdEviPT_S0_.uses_flat_scratch, 0
	.set _Z23multiply_inplace_kernelIdEviPT_S0_.has_dyn_sized_stack, 0
	.set _Z23multiply_inplace_kernelIdEviPT_S0_.has_recursion, 0
	.set _Z23multiply_inplace_kernelIdEviPT_S0_.has_indirect_call, 0
	.section	.AMDGPU.csdata,"",@progbits
; Kernel info:
; codeLenInByte = 128
; TotalNumSgprs: 9
; NumVgprs: 4
; ScratchSize: 0
; MemoryBound: 0
; FloatMode: 240
; IeeeMode: 1
; LDSByteSize: 0 bytes/workgroup (compile time only)
; SGPRBlocks: 0
; VGPRBlocks: 0
; NumSGPRsForWavesPerEU: 9
; NumVGPRsForWavesPerEU: 4
; Occupancy: 16
; WaveLimiterHint : 0
; COMPUTE_PGM_RSRC2:SCRATCH_EN: 0
; COMPUTE_PGM_RSRC2:USER_SGPR: 6
; COMPUTE_PGM_RSRC2:TRAP_HANDLER: 0
; COMPUTE_PGM_RSRC2:TGID_X_EN: 1
; COMPUTE_PGM_RSRC2:TGID_Y_EN: 0
; COMPUTE_PGM_RSRC2:TGID_Z_EN: 0
; COMPUTE_PGM_RSRC2:TIDIG_COMP_CNT: 0
	.section	.AMDGPU.gpr_maximums,"",@progbits
	.set amdgpu.max_num_vgpr, 0
	.set amdgpu.max_num_agpr, 0
	.set amdgpu.max_num_sgpr, 0
	.section	.AMDGPU.csdata,"",@progbits
	.type	__hip_cuid_faf5fdfd8aa04257,@object ; @__hip_cuid_faf5fdfd8aa04257
	.section	.bss,"aw",@nobits
	.globl	__hip_cuid_faf5fdfd8aa04257
__hip_cuid_faf5fdfd8aa04257:
	.byte	0                               ; 0x0
	.size	__hip_cuid_faf5fdfd8aa04257, 1

	.ident	"AMD clang version 22.0.0git (https://github.com/RadeonOpenCompute/llvm-project roc-7.2.4 26084 f58b06dce1f9c15707c5f808fd002e18c2accf7e)"
	.section	".note.GNU-stack","",@progbits
	.addrsig
	.addrsig_sym __hip_cuid_faf5fdfd8aa04257
	.amdgpu_metadata
---
amdhsa.kernels:
  - .args:
      - .offset:         0
        .size:           4
        .value_kind:     by_value
      - .offset:         4
        .size:           4
        .value_kind:     by_value
      - .offset:         8
        .size:           4
        .value_kind:     by_value
      - .address_space:  global
        .offset:         16
        .size:           8
        .value_kind:     global_buffer
      - .address_space:  global
        .offset:         24
        .size:           8
        .value_kind:     global_buffer
      - .address_space:  global
        .offset:         32
        .size:           8
        .value_kind:     global_buffer
      - .address_space:  global
        .offset:         40
        .size:           8
        .value_kind:     global_buffer
      - .address_space:  global
        .offset:         48
        .size:           8
        .value_kind:     global_buffer
      - .offset:         56
        .size:           4
        .value_kind:     hidden_block_count_x
      - .offset:         60
        .size:           4
        .value_kind:     hidden_block_count_y
      - .offset:         64
        .size:           4
        .value_kind:     hidden_block_count_z
      - .offset:         68
        .size:           2
        .value_kind:     hidden_group_size_x
      - .offset:         70
        .size:           2
        .value_kind:     hidden_group_size_y
      - .offset:         72
        .size:           2
        .value_kind:     hidden_group_size_z
      - .offset:         74
        .size:           2
        .value_kind:     hidden_remainder_x
      - .offset:         76
        .size:           2
        .value_kind:     hidden_remainder_y
      - .offset:         78
        .size:           2
        .value_kind:     hidden_remainder_z
      - .offset:         96
        .size:           8
        .value_kind:     hidden_global_offset_x
      - .offset:         104
        .size:           8
        .value_kind:     hidden_global_offset_y
      - .offset:         112
        .size:           8
        .value_kind:     hidden_global_offset_z
      - .offset:         120
        .size:           2
        .value_kind:     hidden_grid_dims
    .group_segment_fixed_size: 1024
    .kernarg_segment_align: 8
    .kernarg_segment_size: 312
    .language:       OpenCL C
    .language_version:
      - 2
      - 0
    .max_flat_workgroup_size: 1024
    .name:           _Z20warp_multiply_kernelIfEviiiPKiS1_PKT_S4_PS2_
    .private_segment_fixed_size: 0
    .sgpr_count:     22
    .sgpr_spill_count: 0
    .symbol:         _Z20warp_multiply_kernelIfEviiiPKiS1_PKT_S4_PS2_.kd
    .uniform_work_group_size: 1
    .uses_dynamic_stack: false
    .vgpr_count:     14
    .vgpr_spill_count: 0
    .wavefront_size: 32
    .workgroup_processor_mode: 1
  - .args:
      - .offset:         0
        .size:           4
        .value_kind:     by_value
      - .address_space:  global
        .offset:         8
        .size:           8
        .value_kind:     global_buffer
      - .address_space:  global
        .offset:         16
        .size:           8
        .value_kind:     global_buffer
      - .address_space:  global
        .offset:         24
        .size:           8
        .value_kind:     global_buffer
      - .offset:         32
        .size:           4
        .value_kind:     hidden_block_count_x
      - .offset:         36
        .size:           4
        .value_kind:     hidden_block_count_y
      - .offset:         40
        .size:           4
        .value_kind:     hidden_block_count_z
      - .offset:         44
        .size:           2
        .value_kind:     hidden_group_size_x
      - .offset:         46
        .size:           2
        .value_kind:     hidden_group_size_y
      - .offset:         48
        .size:           2
        .value_kind:     hidden_group_size_z
      - .offset:         50
        .size:           2
        .value_kind:     hidden_remainder_x
      - .offset:         52
        .size:           2
        .value_kind:     hidden_remainder_y
      - .offset:         54
        .size:           2
        .value_kind:     hidden_remainder_z
      - .offset:         72
        .size:           8
        .value_kind:     hidden_global_offset_x
      - .offset:         80
        .size:           8
        .value_kind:     hidden_global_offset_y
      - .offset:         88
        .size:           8
        .value_kind:     hidden_global_offset_z
      - .offset:         96
        .size:           2
        .value_kind:     hidden_grid_dims
    .group_segment_fixed_size: 1024
    .kernarg_segment_align: 8
    .kernarg_segment_size: 288
    .language:       OpenCL C
    .language_version:
      - 2
      - 0
    .max_flat_workgroup_size: 1024
    .name:           _Z18dot_product_kernelIfEviPKT_S2_PS0_
    .private_segment_fixed_size: 0
    .sgpr_count:     13
    .sgpr_spill_count: 0
    .symbol:         _Z18dot_product_kernelIfEviPKT_S2_PS0_.kd
    .uniform_work_group_size: 1
    .uses_dynamic_stack: false
    .vgpr_count:     5
    .vgpr_spill_count: 0
    .wavefront_size: 32
    .workgroup_processor_mode: 1
  - .args:
      - .offset:         0
        .size:           4
        .value_kind:     by_value
      - .address_space:  global
        .offset:         8
        .size:           8
        .value_kind:     global_buffer
      - .address_space:  global
        .offset:         16
        .size:           8
        .value_kind:     global_buffer
      - .offset:         24
        .size:           4
        .value_kind:     by_value
      - .offset:         32
        .size:           4
        .value_kind:     hidden_block_count_x
      - .offset:         36
        .size:           4
        .value_kind:     hidden_block_count_y
      - .offset:         40
        .size:           4
        .value_kind:     hidden_block_count_z
      - .offset:         44
        .size:           2
        .value_kind:     hidden_group_size_x
      - .offset:         46
        .size:           2
        .value_kind:     hidden_group_size_y
      - .offset:         48
        .size:           2
        .value_kind:     hidden_group_size_z
      - .offset:         50
        .size:           2
        .value_kind:     hidden_remainder_x
      - .offset:         52
        .size:           2
        .value_kind:     hidden_remainder_y
      - .offset:         54
        .size:           2
        .value_kind:     hidden_remainder_z
      - .offset:         72
        .size:           8
        .value_kind:     hidden_global_offset_x
      - .offset:         80
        .size:           8
        .value_kind:     hidden_global_offset_y
      - .offset:         88
        .size:           8
        .value_kind:     hidden_global_offset_z
      - .offset:         96
        .size:           2
        .value_kind:     hidden_grid_dims
    .group_segment_fixed_size: 0
    .kernarg_segment_align: 8
    .kernarg_segment_size: 288
    .language:       OpenCL C
    .language_version:
      - 2
      - 0
    .max_flat_workgroup_size: 1024
    .name:           _Z20saxpy_inplace_kernelIfEviPT_PKS0_S0_
    .private_segment_fixed_size: 0
    .sgpr_count:     9
    .sgpr_spill_count: 0
    .symbol:         _Z20saxpy_inplace_kernelIfEviPT_PKS0_S0_.kd
    .uniform_work_group_size: 1
    .uses_dynamic_stack: false
    .vgpr_count:     4
    .vgpr_spill_count: 0
    .wavefront_size: 32
    .workgroup_processor_mode: 1
  - .args:
      - .offset:         0
        .size:           4
        .value_kind:     by_value
      - .address_space:  global
        .offset:         8
        .size:           8
        .value_kind:     global_buffer
      - .offset:         16
        .size:           4
        .value_kind:     by_value
      - .offset:         24
        .size:           4
        .value_kind:     hidden_block_count_x
      - .offset:         28
        .size:           4
        .value_kind:     hidden_block_count_y
      - .offset:         32
        .size:           4
        .value_kind:     hidden_block_count_z
      - .offset:         36
        .size:           2
        .value_kind:     hidden_group_size_x
      - .offset:         38
        .size:           2
        .value_kind:     hidden_group_size_y
      - .offset:         40
        .size:           2
        .value_kind:     hidden_group_size_z
      - .offset:         42
        .size:           2
        .value_kind:     hidden_remainder_x
      - .offset:         44
        .size:           2
        .value_kind:     hidden_remainder_y
      - .offset:         46
        .size:           2
        .value_kind:     hidden_remainder_z
      - .offset:         64
        .size:           8
        .value_kind:     hidden_global_offset_x
      - .offset:         72
        .size:           8
        .value_kind:     hidden_global_offset_y
      - .offset:         80
        .size:           8
        .value_kind:     hidden_global_offset_z
      - .offset:         88
        .size:           2
        .value_kind:     hidden_grid_dims
    .group_segment_fixed_size: 0
    .kernarg_segment_align: 8
    .kernarg_segment_size: 280
    .language:       OpenCL C
    .language_version:
      - 2
      - 0
    .max_flat_workgroup_size: 1024
    .name:           _Z23multiply_inplace_kernelIfEviPT_S0_
    .private_segment_fixed_size: 0
    .sgpr_count:     9
    .sgpr_spill_count: 0
    .symbol:         _Z23multiply_inplace_kernelIfEviPT_S0_.kd
    .uniform_work_group_size: 1
    .uses_dynamic_stack: false
    .vgpr_count:     3
    .vgpr_spill_count: 0
    .wavefront_size: 32
    .workgroup_processor_mode: 1
  - .args:
      - .offset:         0
        .size:           4
        .value_kind:     by_value
      - .offset:         4
        .size:           4
        .value_kind:     by_value
      - .offset:         8
        .size:           4
        .value_kind:     by_value
      - .address_space:  global
        .offset:         16
        .size:           8
        .value_kind:     global_buffer
      - .address_space:  global
        .offset:         24
        .size:           8
        .value_kind:     global_buffer
      - .address_space:  global
        .offset:         32
        .size:           8
        .value_kind:     global_buffer
      - .address_space:  global
        .offset:         40
        .size:           8
        .value_kind:     global_buffer
      - .address_space:  global
        .offset:         48
        .size:           8
        .value_kind:     global_buffer
      - .offset:         56
        .size:           4
        .value_kind:     hidden_block_count_x
      - .offset:         60
        .size:           4
        .value_kind:     hidden_block_count_y
      - .offset:         64
        .size:           4
        .value_kind:     hidden_block_count_z
      - .offset:         68
        .size:           2
        .value_kind:     hidden_group_size_x
      - .offset:         70
        .size:           2
        .value_kind:     hidden_group_size_y
      - .offset:         72
        .size:           2
        .value_kind:     hidden_group_size_z
      - .offset:         74
        .size:           2
        .value_kind:     hidden_remainder_x
      - .offset:         76
        .size:           2
        .value_kind:     hidden_remainder_y
      - .offset:         78
        .size:           2
        .value_kind:     hidden_remainder_z
      - .offset:         96
        .size:           8
        .value_kind:     hidden_global_offset_x
      - .offset:         104
        .size:           8
        .value_kind:     hidden_global_offset_y
      - .offset:         112
        .size:           8
        .value_kind:     hidden_global_offset_z
      - .offset:         120
        .size:           2
        .value_kind:     hidden_grid_dims
    .group_segment_fixed_size: 2048
    .kernarg_segment_align: 8
    .kernarg_segment_size: 312
    .language:       OpenCL C
    .language_version:
      - 2
      - 0
    .max_flat_workgroup_size: 1024
    .name:           _Z20warp_multiply_kernelIdEviiiPKiS1_PKT_S4_PS2_
    .private_segment_fixed_size: 0
    .sgpr_count:     22
    .sgpr_spill_count: 0
    .symbol:         _Z20warp_multiply_kernelIdEviiiPKiS1_PKT_S4_PS2_.kd
    .uniform_work_group_size: 1
    .uses_dynamic_stack: false
    .vgpr_count:     17
    .vgpr_spill_count: 0
    .wavefront_size: 32
    .workgroup_processor_mode: 1
  - .args:
      - .offset:         0
        .size:           4
        .value_kind:     by_value
      - .address_space:  global
        .offset:         8
        .size:           8
        .value_kind:     global_buffer
      - .address_space:  global
        .offset:         16
        .size:           8
        .value_kind:     global_buffer
      - .address_space:  global
        .offset:         24
        .size:           8
        .value_kind:     global_buffer
      - .offset:         32
        .size:           4
        .value_kind:     hidden_block_count_x
      - .offset:         36
        .size:           4
        .value_kind:     hidden_block_count_y
      - .offset:         40
        .size:           4
        .value_kind:     hidden_block_count_z
      - .offset:         44
        .size:           2
        .value_kind:     hidden_group_size_x
      - .offset:         46
        .size:           2
        .value_kind:     hidden_group_size_y
      - .offset:         48
        .size:           2
        .value_kind:     hidden_group_size_z
      - .offset:         50
        .size:           2
        .value_kind:     hidden_remainder_x
      - .offset:         52
        .size:           2
        .value_kind:     hidden_remainder_y
      - .offset:         54
        .size:           2
        .value_kind:     hidden_remainder_z
      - .offset:         72
        .size:           8
        .value_kind:     hidden_global_offset_x
      - .offset:         80
        .size:           8
        .value_kind:     hidden_global_offset_y
      - .offset:         88
        .size:           8
        .value_kind:     hidden_global_offset_z
      - .offset:         96
        .size:           2
        .value_kind:     hidden_grid_dims
    .group_segment_fixed_size: 2048
    .kernarg_segment_align: 8
    .kernarg_segment_size: 288
    .language:       OpenCL C
    .language_version:
      - 2
      - 0
    .max_flat_workgroup_size: 1024
    .name:           _Z18dot_product_kernelIdEviPKT_S2_PS0_
    .private_segment_fixed_size: 0
    .sgpr_count:     13
    .sgpr_spill_count: 0
    .symbol:         _Z18dot_product_kernelIdEviPKT_S2_PS0_.kd
    .uniform_work_group_size: 1
    .uses_dynamic_stack: false
    .vgpr_count:     8
    .vgpr_spill_count: 0
    .wavefront_size: 32
    .workgroup_processor_mode: 1
  - .args:
      - .offset:         0
        .size:           4
        .value_kind:     by_value
      - .address_space:  global
        .offset:         8
        .size:           8
        .value_kind:     global_buffer
      - .address_space:  global
        .offset:         16
        .size:           8
        .value_kind:     global_buffer
      - .offset:         24
        .size:           8
        .value_kind:     by_value
      - .offset:         32
        .size:           4
        .value_kind:     hidden_block_count_x
      - .offset:         36
        .size:           4
        .value_kind:     hidden_block_count_y
      - .offset:         40
        .size:           4
        .value_kind:     hidden_block_count_z
      - .offset:         44
        .size:           2
        .value_kind:     hidden_group_size_x
      - .offset:         46
        .size:           2
        .value_kind:     hidden_group_size_y
      - .offset:         48
        .size:           2
        .value_kind:     hidden_group_size_z
      - .offset:         50
        .size:           2
        .value_kind:     hidden_remainder_x
      - .offset:         52
        .size:           2
        .value_kind:     hidden_remainder_y
      - .offset:         54
        .size:           2
        .value_kind:     hidden_remainder_z
      - .offset:         72
        .size:           8
        .value_kind:     hidden_global_offset_x
      - .offset:         80
        .size:           8
        .value_kind:     hidden_global_offset_y
      - .offset:         88
        .size:           8
        .value_kind:     hidden_global_offset_z
      - .offset:         96
        .size:           2
        .value_kind:     hidden_grid_dims
    .group_segment_fixed_size: 0
    .kernarg_segment_align: 8
    .kernarg_segment_size: 288
    .language:       OpenCL C
    .language_version:
      - 2
      - 0
    .max_flat_workgroup_size: 1024
    .name:           _Z20saxpy_inplace_kernelIdEviPT_PKS0_S0_
    .private_segment_fixed_size: 0
    .sgpr_count:     9
    .sgpr_spill_count: 0
    .symbol:         _Z20saxpy_inplace_kernelIdEviPT_PKS0_S0_.kd
    .uniform_work_group_size: 1
    .uses_dynamic_stack: false
    .vgpr_count:     6
    .vgpr_spill_count: 0
    .wavefront_size: 32
    .workgroup_processor_mode: 1
  - .args:
      - .offset:         0
        .size:           4
        .value_kind:     by_value
      - .address_space:  global
        .offset:         8
        .size:           8
        .value_kind:     global_buffer
      - .offset:         16
        .size:           8
        .value_kind:     by_value
      - .offset:         24
        .size:           4
        .value_kind:     hidden_block_count_x
      - .offset:         28
        .size:           4
        .value_kind:     hidden_block_count_y
      - .offset:         32
        .size:           4
        .value_kind:     hidden_block_count_z
      - .offset:         36
        .size:           2
        .value_kind:     hidden_group_size_x
      - .offset:         38
        .size:           2
        .value_kind:     hidden_group_size_y
      - .offset:         40
        .size:           2
        .value_kind:     hidden_group_size_z
      - .offset:         42
        .size:           2
        .value_kind:     hidden_remainder_x
      - .offset:         44
        .size:           2
        .value_kind:     hidden_remainder_y
      - .offset:         46
        .size:           2
        .value_kind:     hidden_remainder_z
      - .offset:         64
        .size:           8
        .value_kind:     hidden_global_offset_x
      - .offset:         72
        .size:           8
        .value_kind:     hidden_global_offset_y
      - .offset:         80
        .size:           8
        .value_kind:     hidden_global_offset_z
      - .offset:         88
        .size:           2
        .value_kind:     hidden_grid_dims
    .group_segment_fixed_size: 0
    .kernarg_segment_align: 8
    .kernarg_segment_size: 280
    .language:       OpenCL C
    .language_version:
      - 2
      - 0
    .max_flat_workgroup_size: 1024
    .name:           _Z23multiply_inplace_kernelIdEviPT_S0_
    .private_segment_fixed_size: 0
    .sgpr_count:     9
    .sgpr_spill_count: 0
    .symbol:         _Z23multiply_inplace_kernelIdEviPT_S0_.kd
    .uniform_work_group_size: 1
    .uses_dynamic_stack: false
    .vgpr_count:     4
    .vgpr_spill_count: 0
    .wavefront_size: 32
    .workgroup_processor_mode: 1
amdhsa.target:   amdgcn-amd-amdhsa--gfx1030
amdhsa.version:
  - 1
  - 2
...

	.end_amdgpu_metadata
